;; amdgpu-corpus repo=ROCm/rocFFT kind=compiled arch=gfx906 opt=O3
	.text
	.amdgcn_target "amdgcn-amd-amdhsa--gfx906"
	.amdhsa_code_object_version 6
	.protected	fft_rtc_fwd_len192_factors_6_4_4_2_wgs_256_tpt_32_dp_op_CI_CI_sbrc_erc_z_xy_unaligned_dirReg ; -- Begin function fft_rtc_fwd_len192_factors_6_4_4_2_wgs_256_tpt_32_dp_op_CI_CI_sbrc_erc_z_xy_unaligned_dirReg
	.globl	fft_rtc_fwd_len192_factors_6_4_4_2_wgs_256_tpt_32_dp_op_CI_CI_sbrc_erc_z_xy_unaligned_dirReg
	.p2align	8
	.type	fft_rtc_fwd_len192_factors_6_4_4_2_wgs_256_tpt_32_dp_op_CI_CI_sbrc_erc_z_xy_unaligned_dirReg,@function
fft_rtc_fwd_len192_factors_6_4_4_2_wgs_256_tpt_32_dp_op_CI_CI_sbrc_erc_z_xy_unaligned_dirReg: ; @fft_rtc_fwd_len192_factors_6_4_4_2_wgs_256_tpt_32_dp_op_CI_CI_sbrc_erc_z_xy_unaligned_dirReg
; %bb.0:
	s_load_dwordx8 s[8:15], s[4:5], 0x8
	s_mov_b64 s[28:29], -1
	s_waitcnt lgkmcnt(0)
	s_load_dwordx4 s[16:19], s[10:11], 0x8
	s_waitcnt lgkmcnt(0)
	s_add_i32 s0, s16, -1
	s_lshr_b32 s7, s0, 3
	s_add_i32 s10, s7, 1
	s_mul_i32 s11, s10, s18
	v_cvt_f32_u32_e32 v2, s11
	v_cvt_f32_u32_e32 v1, s10
	s_sub_i32 s17, 0, s11
	s_load_dwordx4 s[0:3], s[12:13], 0x0
	v_rcp_iflag_f32_e32 v2, v2
	v_rcp_iflag_f32_e32 v1, v1
	s_waitcnt lgkmcnt(0)
	s_load_dword s3, s[12:13], 0x10
	v_mul_f32_e32 v2, 0x4f7ffffe, v2
	v_cvt_u32_f32_e32 v2, v2
	v_mul_f32_e32 v1, 0x4f7ffffe, v1
	v_cvt_u32_f32_e32 v1, v1
	v_readfirstlane_b32 s19, v2
	s_mul_i32 s17, s17, s19
	s_mul_hi_u32 s17, s19, s17
	s_add_i32 s19, s19, s17
	s_mul_hi_u32 s17, s6, s19
	s_mul_i32 s19, s17, s11
	s_sub_i32 s19, s6, s19
	s_add_i32 s20, s17, 1
	s_sub_i32 s21, s19, s11
	s_cmp_ge_u32 s19, s11
	s_cselect_b32 s17, s20, s17
	s_cselect_b32 s19, s21, s19
	s_add_i32 s20, s17, 1
	s_cmp_ge_u32 s19, s11
	v_readfirstlane_b32 s18, v1
	s_cselect_b32 s30, s20, s17
	s_not_b32 s7, s7
	s_mul_i32 s7, s7, s18
	s_mul_i32 s11, s30, s11
	s_mul_hi_u32 s7, s18, s7
	s_sub_i32 s11, s6, s11
	s_add_i32 s18, s18, s7
	s_mul_hi_u32 s7, s11, s18
	s_mul_i32 s17, s7, s10
	s_sub_i32 s11, s11, s17
	s_add_i32 s19, s7, 1
	s_sub_i32 s17, s11, s10
	s_cmp_ge_u32 s11, s10
	s_cselect_b32 s7, s19, s7
	s_cselect_b32 s11, s17, s11
	s_add_i32 s17, s7, 1
	s_cmp_ge_u32 s11, s10
	s_cselect_b32 s31, s17, s7
	s_mul_hi_u32 s7, s6, s18
	s_mul_i32 s7, s7, s10
	s_sub_i32 s6, s6, s7
	s_sub_i32 s7, s6, s10
	s_cmp_ge_u32 s6, s10
	s_cselect_b32 s6, s7, s6
	s_sub_i32 s7, s6, s10
	s_cmp_ge_u32 s6, s10
	s_cselect_b32 s6, s7, s6
	s_lshl_b32 s17, s6, 3
	s_waitcnt lgkmcnt(0)
	s_mul_i32 s3, s31, s3
	s_mul_i32 s6, s17, s2
	s_add_i32 s3, s6, s3
	s_lshl_b64 s[6:7], s[8:9], 3
	s_add_u32 s8, s12, s6
	s_addc_u32 s9, s13, s7
	s_load_dwordx2 s[10:11], s[8:9], 0x0
	s_load_dwordx2 s[22:23], s[4:5], 0x58
	s_waitcnt lgkmcnt(0)
	s_mul_i32 s8, s11, s30
	s_mul_hi_u32 s9, s10, s30
	s_add_i32 s9, s9, s8
	s_mul_i32 s8, s10, s30
	s_add_u32 s24, s8, s3
	s_addc_u32 s25, s9, 0
	s_add_u32 s26, s14, s6
	s_addc_u32 s27, s15, s7
	s_add_i32 s3, s17, 8
	s_cmp_le_u32 s3, s16
	s_cselect_b64 s[6:7], -1, 0
	s_and_b64 vcc, exec, s[6:7]
	s_cbranch_vccz .LBB0_2
; %bb.1:
	v_mul_u32_u24_e32 v1, 0x156, v0
	v_lshrrev_b32_e32 v25, 16, v1
	v_mul_lo_u16_e32 v1, 0xc0, v25
	v_sub_u16_e32 v26, v0, v1
	v_mad_u64_u32 v[1:2], s[8:9], s0, v26, 0
	s_movk_i32 s10, 0x156
	v_mul_lo_u32 v21, s2, v25
	v_mad_u64_u32 v[2:3], s[8:9], s1, v26, v[2:3]
	v_or_b32_e32 v3, 0x100, v0
	v_mul_u32_u24_sdwa v4, v3, s10 dst_sel:DWORD dst_unused:UNUSED_PAD src0_sel:WORD_0 src1_sel:DWORD
	v_lshrrev_b32_e32 v27, 16, v4
	v_mul_lo_u16_e32 v4, 0xc0, v27
	v_sub_u16_e32 v28, v3, v4
	s_lshl_b64 s[8:9], s[24:25], 4
	v_mad_u64_u32 v[3:4], s[10:11], s0, v28, 0
	s_add_u32 s3, s22, s8
	v_lshlrev_b64 v[1:2], 4, v[1:2]
	s_addc_u32 s8, s23, s9
	v_mov_b32_e32 v5, s8
	v_add_co_u32_e32 v6, vcc, s3, v1
	v_mov_b32_e32 v22, 0
	v_addc_co_u32_e32 v7, vcc, v5, v2, vcc
	v_mad_u64_u32 v[4:5], s[10:11], s1, v28, v[4:5]
	v_lshlrev_b64 v[1:2], 4, v[21:22]
	s_movk_i32 s9, 0x2ab
	v_add_co_u32_e32 v9, vcc, v6, v1
	v_addc_co_u32_e32 v10, vcc, v7, v2, vcc
	v_lshlrev_b64 v[1:2], 4, v[3:4]
	v_or_b32_e32 v3, 0x200, v0
	v_mul_u32_u24_sdwa v4, v3, s9 dst_sel:DWORD dst_unused:UNUSED_PAD src0_sel:WORD_0 src1_sel:DWORD
	v_lshrrev_b32_e32 v29, 17, v4
	v_mul_lo_u16_e32 v4, 0xc0, v29
	v_sub_u16_e32 v30, v3, v4
	v_mad_u64_u32 v[3:4], s[10:11], s0, v30, 0
	v_mul_lo_u32 v21, s2, v27
	v_mov_b32_e32 v5, s8
	v_add_co_u32_e32 v6, vcc, s3, v1
	v_addc_co_u32_e32 v7, vcc, v5, v2, vcc
	v_mad_u64_u32 v[4:5], s[10:11], s1, v30, v[4:5]
	v_lshlrev_b64 v[1:2], 4, v[21:22]
	v_mul_lo_u32 v21, s2, v29
	v_add_co_u32_e32 v11, vcc, v6, v1
	v_addc_co_u32_e32 v12, vcc, v7, v2, vcc
	v_lshlrev_b64 v[1:2], 4, v[3:4]
	v_or_b32_e32 v4, 0x300, v0
	v_mul_u32_u24_sdwa v5, v4, s9 dst_sel:DWORD dst_unused:UNUSED_PAD src0_sel:WORD_0 src1_sel:DWORD
	v_lshrrev_b32_e32 v31, 17, v5
	v_mul_lo_u16_e32 v5, 0xc0, v31
	v_sub_u16_e32 v32, v4, v5
	v_mad_u64_u32 v[13:14], s[10:11], s0, v32, 0
	v_mov_b32_e32 v3, s8
	v_add_co_u32_e32 v4, vcc, s3, v1
	v_addc_co_u32_e32 v5, vcc, v3, v2, vcc
	v_mov_b32_e32 v3, v14
	v_lshlrev_b64 v[1:2], 4, v[21:22]
	v_mad_u64_u32 v[14:15], s[10:11], s1, v32, v[3:4]
	v_add_co_u32_e32 v17, vcc, v4, v1
	v_addc_co_u32_e32 v18, vcc, v5, v2, vcc
	global_load_dwordx4 v[1:4], v[9:10], off
	global_load_dwordx4 v[5:8], v[11:12], off
	v_or_b32_e32 v12, 0x400, v0
	v_lshlrev_b64 v[9:10], 4, v[13:14]
	v_mul_u32_u24_sdwa v13, v12, s9 dst_sel:DWORD dst_unused:UNUSED_PAD src0_sel:WORD_0 src1_sel:DWORD
	v_lshrrev_b32_e32 v33, 17, v13
	v_mul_lo_u16_e32 v13, 0xc0, v33
	v_sub_u16_e32 v34, v12, v13
	v_mad_u64_u32 v[19:20], s[10:11], s0, v34, 0
	v_mul_lo_u32 v21, s2, v31
	v_mov_b32_e32 v11, s8
	v_add_co_u32_e32 v12, vcc, s3, v9
	v_addc_co_u32_e32 v13, vcc, v11, v10, vcc
	v_mov_b32_e32 v11, v20
	v_lshlrev_b64 v[9:10], 4, v[21:22]
	v_mad_u64_u32 v[20:21], s[10:11], s1, v34, v[11:12]
	v_add_co_u32_e32 v23, vcc, v12, v9
	v_addc_co_u32_e32 v24, vcc, v13, v10, vcc
	global_load_dwordx4 v[9:12], v[17:18], off
	global_load_dwordx4 v[13:16], v[23:24], off
	v_lshlrev_b64 v[17:18], 4, v[19:20]
	v_or_b32_e32 v19, 0x500, v0
	v_mul_u32_u24_sdwa v20, v19, s9 dst_sel:DWORD dst_unused:UNUSED_PAD src0_sel:WORD_0 src1_sel:DWORD
	v_lshrrev_b32_e32 v35, 17, v20
	v_mul_lo_u16_e32 v20, 0xc0, v35
	v_sub_u16_e32 v36, v19, v20
	v_mul_lo_u32 v21, s2, v33
	v_mad_u64_u32 v[19:20], s[10:11], s0, v36, 0
	v_mov_b32_e32 v23, s8
	v_add_co_u32_e32 v24, vcc, s3, v17
	v_addc_co_u32_e32 v23, vcc, v23, v18, vcc
	v_lshlrev_b64 v[17:18], 4, v[21:22]
	v_mad_u64_u32 v[20:21], s[10:11], s1, v36, v[20:21]
	v_mul_lo_u32 v21, s2, v35
	v_add_co_u32_e32 v17, vcc, v24, v17
	v_lshlrev_b64 v[19:20], 4, v[19:20]
	v_addc_co_u32_e32 v18, vcc, v23, v18, vcc
	v_mov_b32_e32 v23, s8
	v_add_co_u32_e32 v24, vcc, s3, v19
	v_lshlrev_b64 v[21:22], 4, v[21:22]
	v_addc_co_u32_e32 v23, vcc, v23, v20, vcc
	global_load_dwordx4 v[17:20], v[17:18], off
	v_add_co_u32_e32 v21, vcc, v24, v21
	v_addc_co_u32_e32 v22, vcc, v23, v22, vcc
	global_load_dwordx4 v[21:24], v[21:22], off
	v_mul_u32_u24_e32 v25, 0xc10, v25
	v_lshlrev_b32_e32 v26, 4, v26
	v_add3_u32 v25, 0, v25, v26
	s_mov_b64 s[28:29], 0
	s_waitcnt vmcnt(5)
	ds_write_b128 v25, v[1:4]
	v_mul_u32_u24_e32 v1, 0xc10, v27
	v_lshlrev_b32_e32 v2, 4, v28
	v_add3_u32 v1, 0, v1, v2
	v_mul_u32_u24_e32 v2, 0xc10, v29
	v_lshlrev_b32_e32 v3, 4, v30
	s_waitcnt vmcnt(4)
	ds_write_b128 v1, v[5:8]
	v_add3_u32 v1, 0, v2, v3
	v_lshlrev_b32_e32 v2, 4, v32
	s_waitcnt vmcnt(3)
	ds_write_b128 v1, v[9:12]
	v_mul_u32_u24_e32 v1, 0xc10, v31
	v_add3_u32 v1, 0, v1, v2
	s_waitcnt vmcnt(2)
	ds_write_b128 v1, v[13:16]
	v_mul_u32_u24_e32 v1, 0xc10, v33
	v_lshlrev_b32_e32 v2, 4, v34
	v_add3_u32 v1, 0, v1, v2
	v_lshlrev_b32_e32 v2, 4, v36
	s_waitcnt vmcnt(1)
	ds_write_b128 v1, v[17:20]
	v_mul_u32_u24_e32 v1, 0xc10, v35
	v_add3_u32 v1, 0, v1, v2
	s_waitcnt vmcnt(0)
	ds_write_b128 v1, v[21:24]
.LBB0_2:
	s_load_dwordx2 s[12:13], s[14:15], 0x10
	s_load_dwordx2 s[20:21], s[4:5], 0x0
	s_load_dwordx4 s[8:11], s[14:15], 0x0
	s_load_dwordx2 s[18:19], s[26:27], 0x0
	s_andn2_b64 vcc, exec, s[28:29]
	s_cbranch_vccnz .LBB0_6
; %bb.3:
	s_lshl_b64 s[14:15], s[24:25], 4
	s_add_u32 s3, s22, s14
	s_waitcnt lgkmcnt(0)
	s_addc_u32 s13, s23, s15
	s_mov_b64 s[14:15], 0
	s_mov_b32 s11, 0xaaab
	v_mov_b32_e32 v2, 0
	v_mov_b32_e32 v3, s13
	s_movk_i32 s13, 0x5ff
	v_mov_b32_e32 v4, v0
.LBB0_4:                                ; =>This Inner Loop Header: Depth=1
	v_mul_u32_u24_sdwa v1, v4, s11 dst_sel:DWORD dst_unused:UNUSED_PAD src0_sel:WORD_0 src1_sel:DWORD
	v_lshrrev_b32_e32 v11, 23, v1
	v_mul_lo_u16_e32 v5, 0xc0, v11
	v_sub_u16_e32 v12, v4, v5
	v_mul_lo_u32 v1, v11, s2
	v_mad_u64_u32 v[5:6], s[22:23], s0, v12, 0
	v_add_u32_e32 v4, 0x100, v4
	v_lshlrev_b64 v[7:8], 4, v[1:2]
	v_mov_b32_e32 v1, v6
	v_mad_u64_u32 v[9:10], s[22:23], s1, v12, v[1:2]
	v_mov_b32_e32 v6, v9
	v_lshlrev_b64 v[5:6], 4, v[5:6]
	v_lshlrev_b32_e32 v9, 4, v12
	v_add_co_u32_e32 v1, vcc, s3, v5
	v_addc_co_u32_e32 v6, vcc, v3, v6, vcc
	v_add_co_u32_e32 v5, vcc, v1, v7
	v_addc_co_u32_e32 v6, vcc, v6, v8, vcc
	global_load_dwordx4 v[5:8], v[5:6], off
	v_mul_u32_u24_e32 v1, 0xc10, v11
	v_cmp_lt_u32_e32 vcc, s13, v4
	v_add3_u32 v1, 0, v1, v9
	s_or_b64 s[14:15], vcc, s[14:15]
	s_waitcnt vmcnt(0)
	ds_write_b128 v1, v[5:8]
	s_andn2_b64 exec, exec, s[14:15]
	s_cbranch_execnz .LBB0_4
; %bb.5:
	s_or_b64 exec, exec, s[14:15]
.LBB0_6:
	v_lshrrev_b32_e32 v1, 5, v0
	v_mul_u32_u24_e32 v34, 0xc1, v1
	v_and_b32_e32 v39, 31, v0
	v_lshlrev_b32_e32 v38, 4, v34
	v_lshlrev_b32_e32 v37, 4, v39
	v_add3_u32 v35, 0, v38, v37
	v_add_u32_e32 v36, 0, v37
	s_waitcnt lgkmcnt(0)
	s_barrier
	v_add_u32_e32 v33, v36, v38
	ds_read_b128 v[1:4], v35
	ds_read_b128 v[5:8], v33 offset:1024
	ds_read_b128 v[9:12], v33 offset:1536
	;; [unrolled: 1-line block ×5, first 2 shown]
	s_waitcnt lgkmcnt(4)
	v_add_f64 v[25:26], v[1:2], v[5:6]
	s_mov_b32 s0, 0xe8584caa
	s_waitcnt lgkmcnt(2)
	v_add_f64 v[29:30], v[11:12], v[15:16]
	v_add_f64 v[31:32], v[9:10], v[13:14]
	s_waitcnt lgkmcnt(1)
	v_add_f64 v[40:41], v[5:6], v[17:18]
	v_add_f64 v[44:45], v[5:6], -v[17:18]
	v_add_f64 v[5:6], v[11:12], -v[15:16]
	;; [unrolled: 1-line block ×3, first 2 shown]
	s_waitcnt lgkmcnt(0)
	v_add_f64 v[9:10], v[21:22], v[9:10]
	v_add_f64 v[11:12], v[23:24], v[11:12]
	v_fma_f64 v[29:30], v[29:30], -0.5, v[23:24]
	v_fma_f64 v[31:32], v[31:32], -0.5, v[21:22]
	s_mov_b32 s1, 0x3febb67a
	s_mov_b32 s3, 0xbfebb67a
	;; [unrolled: 1-line block ×3, first 2 shown]
	v_add_f64 v[27:28], v[3:4], v[7:8]
	v_add_f64 v[42:43], v[7:8], -v[19:20]
	v_add_f64 v[7:8], v[7:8], v[19:20]
	v_fma_f64 v[21:22], v[46:47], s[2:3], v[29:30]
	v_fma_f64 v[23:24], v[5:6], s[0:1], v[31:32]
	v_add_f64 v[9:10], v[9:10], v[13:14]
	v_add_f64 v[11:12], v[11:12], v[15:16]
	v_fma_f64 v[13:14], v[5:6], s[2:3], v[31:32]
	v_fma_f64 v[15:16], v[46:47], s[0:1], v[29:30]
	v_add_f64 v[17:18], v[25:26], v[17:18]
	v_add_f64 v[19:20], v[27:28], v[19:20]
	v_mul_f64 v[25:26], v[21:22], s[0:1]
	v_mul_f64 v[27:28], v[23:24], s[2:3]
	v_fma_f64 v[1:2], v[40:41], -0.5, v[1:2]
	v_fma_f64 v[3:4], v[7:8], -0.5, v[3:4]
	v_mul_f64 v[29:30], v[13:14], -0.5
	v_mul_f64 v[31:32], v[15:16], -0.5
	v_add_f64 v[5:6], v[17:18], v[9:10]
	v_add_f64 v[7:8], v[19:20], v[11:12]
	v_fma_f64 v[23:24], v[23:24], 0.5, v[25:26]
	v_fma_f64 v[21:22], v[21:22], 0.5, v[27:28]
	v_fma_f64 v[25:26], v[42:43], s[0:1], v[1:2]
	v_fma_f64 v[27:28], v[44:45], s[2:3], v[3:4]
	;; [unrolled: 1-line block ×6, first 2 shown]
	v_add_f64 v[13:14], v[17:18], -v[9:10]
	v_add_f64 v[15:16], v[19:20], -v[11:12]
	v_add_f64 v[17:18], v[25:26], v[23:24]
	v_add_f64 v[19:20], v[27:28], v[21:22]
	v_add_f64 v[1:2], v[25:26], -v[23:24]
	v_add_f64 v[3:4], v[27:28], -v[21:22]
	v_add_f64 v[21:22], v[40:41], v[29:30]
	v_add_f64 v[23:24], v[42:43], v[31:32]
	v_add_f64 v[9:10], v[40:41], -v[29:30]
	v_add_f64 v[11:12], v[42:43], -v[31:32]
	s_movk_i32 s0, 0x50
	v_mad_u32_u24 v25, v39, s0, v33
	s_barrier
	ds_write_b128 v25, v[5:8]
	ds_write_b128 v25, v[17:20] offset:16
	ds_write_b128 v25, v[21:24] offset:32
	;; [unrolled: 1-line block ×5, first 2 shown]
	s_waitcnt lgkmcnt(0)
	s_barrier
	ds_read_b128 v[5:8], v35
	ds_read_b128 v[29:32], v33 offset:768
	ds_read_b128 v[25:28], v33 offset:1536
	;; [unrolled: 1-line block ×3, first 2 shown]
	v_cmp_gt_u32_e32 vcc, 16, v39
                                        ; implicit-def: $vgpr15_vgpr16
                                        ; implicit-def: $vgpr19_vgpr20
	s_and_saveexec_b64 s[0:1], vcc
	s_cbranch_execz .LBB0_8
; %bb.7:
	ds_read_b128 v[1:4], v33 offset:512
	ds_read_b128 v[9:12], v33 offset:1280
	;; [unrolled: 1-line block ×4, first 2 shown]
.LBB0_8:
	s_or_b64 exec, exec, s[0:1]
	v_mul_lo_u16_e32 v55, 43, v39
	v_mov_b32_e32 v49, 6
	v_mul_lo_u16_sdwa v40, v55, v49 dst_sel:DWORD dst_unused:UNUSED_PAD src0_sel:BYTE_1 src1_sel:DWORD
	v_sub_u16_e32 v56, v39, v40
	v_mul_lo_u16_e32 v40, 3, v56
	v_mov_b32_e32 v42, 4
	v_lshlrev_b32_sdwa v50, v42, v40 dst_sel:DWORD dst_unused:UNUSED_PAD src0_sel:DWORD src1_sel:BYTE_0
	global_load_dwordx4 v[43:46], v50, s[20:21]
	s_waitcnt vmcnt(0) lgkmcnt(2)
	v_mul_f64 v[40:41], v[31:32], v[45:46]
	v_fma_f64 v[47:48], v[29:30], v[43:44], -v[40:41]
	v_mul_f64 v[29:30], v[29:30], v[45:46]
	v_fma_f64 v[43:44], v[31:32], v[43:44], v[29:30]
	global_load_dwordx4 v[29:32], v50, s[20:21] offset:16
	s_waitcnt vmcnt(0) lgkmcnt(1)
	v_mul_f64 v[40:41], v[27:28], v[31:32]
	v_fma_f64 v[45:46], v[25:26], v[29:30], -v[40:41]
	v_mul_f64 v[25:26], v[25:26], v[31:32]
	v_or_b32_e32 v40, 32, v39
	v_mul_lo_u16_e32 v41, 43, v40
	v_fma_f64 v[29:30], v[27:28], v[29:30], v[25:26]
	global_load_dwordx4 v[25:28], v50, s[20:21] offset:32
	s_waitcnt vmcnt(0) lgkmcnt(0)
	v_mul_f64 v[31:32], v[23:24], v[27:28]
	v_fma_f64 v[31:32], v[21:22], v[25:26], -v[31:32]
	v_mul_f64 v[21:22], v[21:22], v[27:28]
	v_fma_f64 v[26:27], v[23:24], v[25:26], v[21:22]
	v_mul_lo_u16_sdwa v21, v41, v49 dst_sel:DWORD dst_unused:UNUSED_PAD src0_sel:BYTE_1 src1_sel:DWORD
	v_sub_u16_e32 v21, v40, v21
	v_mul_lo_u16_e32 v22, 3, v21
	v_lshlrev_b32_sdwa v28, v42, v22 dst_sel:DWORD dst_unused:UNUSED_PAD src0_sel:DWORD src1_sel:BYTE_0
	global_load_dwordx4 v[22:25], v28, s[20:21]
	v_add_f64 v[26:27], v[43:44], -v[26:27]
	s_waitcnt vmcnt(0)
	v_mul_f64 v[49:50], v[11:12], v[24:25]
	v_fma_f64 v[49:50], v[9:10], v[22:23], -v[49:50]
	v_mul_f64 v[9:10], v[9:10], v[24:25]
	v_fma_f64 v[51:52], v[11:12], v[22:23], v[9:10]
	global_load_dwordx4 v[9:12], v28, s[20:21] offset:16
	s_waitcnt vmcnt(0)
	v_mul_f64 v[22:23], v[15:16], v[11:12]
	v_mul_f64 v[11:12], v[13:14], v[11:12]
	v_fma_f64 v[53:54], v[13:14], v[9:10], -v[22:23]
	v_fma_f64 v[13:14], v[15:16], v[9:10], v[11:12]
	global_load_dwordx4 v[9:12], v28, s[20:21] offset:32
	s_waitcnt vmcnt(0)
	s_barrier
	v_mul_f64 v[15:16], v[19:20], v[11:12]
	v_mul_f64 v[11:12], v[17:18], v[11:12]
	v_fma_f64 v[15:16], v[17:18], v[9:10], -v[15:16]
	v_fma_f64 v[9:10], v[19:20], v[9:10], v[11:12]
	v_add_f64 v[11:12], v[5:6], -v[45:46]
	v_add_f64 v[17:18], v[7:8], -v[29:30]
	;; [unrolled: 1-line block ×6, first 2 shown]
	v_fma_f64 v[19:20], v[5:6], 2.0, -v[11:12]
	v_add_f64 v[24:25], v[17:18], v[28:29]
	v_fma_f64 v[45:46], v[7:8], 2.0, -v[17:18]
	v_fma_f64 v[1:2], v[1:2], 2.0, -v[30:31]
	;; [unrolled: 1-line block ×4, first 2 shown]
	v_mov_b32_e32 v17, 24
	v_mul_lo_u16_sdwa v11, v55, v17 dst_sel:DWORD dst_unused:UNUSED_PAD src0_sel:BYTE_1 src1_sel:DWORD
	v_or_b32_e32 v11, v11, v56
	v_lshlrev_b32_sdwa v11, v42, v11 dst_sel:DWORD dst_unused:UNUSED_PAD src0_sel:DWORD src1_sel:BYTE_0
	v_add3_u32 v18, 0, v11, v38
	v_add_f64 v[11:12], v[49:50], -v[15:16]
	ds_write_b128 v18, v[5:8] offset:96
	v_fma_f64 v[7:8], v[43:44], 2.0, -v[26:27]
	v_add_f64 v[43:44], v[3:4], -v[13:14]
	v_fma_f64 v[5:6], v[47:48], 2.0, -v[28:29]
	v_add_f64 v[13:14], v[30:31], -v[9:10]
	v_fma_f64 v[47:48], v[49:50], 2.0, -v[11:12]
	v_fma_f64 v[49:50], v[51:52], 2.0, -v[9:10]
	v_add_f64 v[28:29], v[45:46], -v[7:8]
	v_fma_f64 v[3:4], v[3:4], 2.0, -v[43:44]
	v_add_f64 v[15:16], v[43:44], v[11:12]
	v_add_f64 v[26:27], v[19:20], -v[5:6]
	v_fma_f64 v[5:6], v[30:31], 2.0, -v[13:14]
	v_add_f64 v[9:10], v[1:2], -v[47:48]
	v_fma_f64 v[45:46], v[45:46], 2.0, -v[28:29]
	;; [unrolled: 2-line block ×3, first 2 shown]
	v_fma_f64 v[43:44], v[19:20], 2.0, -v[26:27]
	ds_write_b128 v18, v[26:29] offset:192
	ds_write_b128 v18, v[43:46]
	ds_write_b128 v18, v[22:25] offset:288
	v_fma_f64 v[1:2], v[1:2], 2.0, -v[9:10]
	v_fma_f64 v[3:4], v[3:4], 2.0, -v[11:12]
	s_and_saveexec_b64 s[0:1], vcc
	s_cbranch_execz .LBB0_10
; %bb.9:
	v_mul_lo_u16_sdwa v17, v41, v17 dst_sel:DWORD dst_unused:UNUSED_PAD src0_sel:BYTE_1 src1_sel:DWORD
	v_or_b32_e32 v17, v17, v21
	v_lshlrev_b32_sdwa v17, v42, v17 dst_sel:DWORD dst_unused:UNUSED_PAD src0_sel:DWORD src1_sel:BYTE_0
	v_add3_u32 v17, 0, v17, v38
	ds_write_b128 v17, v[1:4]
	ds_write_b128 v17, v[5:8] offset:96
	ds_write_b128 v17, v[9:12] offset:192
	;; [unrolled: 1-line block ×3, first 2 shown]
.LBB0_10:
	s_or_b64 exec, exec, s[0:1]
	s_waitcnt lgkmcnt(0)
	s_barrier
	ds_read_b128 v[17:20], v35
	ds_read_b128 v[29:32], v33 offset:768
	ds_read_b128 v[25:28], v33 offset:1536
	;; [unrolled: 1-line block ×3, first 2 shown]
	s_and_saveexec_b64 s[0:1], vcc
	s_cbranch_execz .LBB0_12
; %bb.11:
	ds_read_b128 v[1:4], v33 offset:512
	ds_read_b128 v[5:8], v33 offset:1280
	;; [unrolled: 1-line block ×4, first 2 shown]
.LBB0_12:
	s_or_b64 exec, exec, s[0:1]
	v_subrev_u32_e32 v42, 24, v39
	v_cmp_gt_u32_e64 s[0:1], 24, v39
	v_cndmask_b32_e64 v60, v42, v39, s[0:1]
	v_mul_i32_i24_e32 v42, 3, v60
	v_mov_b32_e32 v43, 0
	v_lshlrev_b64 v[42:43], 4, v[42:43]
	v_mov_b32_e32 v44, s21
	v_add_co_u32_e64 v54, s[0:1], s20, v42
	v_addc_co_u32_e64 v55, s[0:1], v44, v43, s[0:1]
	global_load_dwordx4 v[42:45], v[54:55], off offset:288
	global_load_dwordx4 v[46:49], v[54:55], off offset:304
	;; [unrolled: 1-line block ×3, first 2 shown]
	v_cmp_lt_u32_e64 s[0:1], 23, v39
	s_load_dwordx2 s[2:3], s[4:5], 0x60
	s_waitcnt vmcnt(0) lgkmcnt(0)
	s_barrier
	v_mul_f64 v[54:55], v[31:32], v[44:45]
	v_mul_f64 v[44:45], v[29:30], v[44:45]
	;; [unrolled: 1-line block ×6, first 2 shown]
	v_fma_f64 v[29:30], v[29:30], v[42:43], -v[54:55]
	v_fma_f64 v[31:32], v[31:32], v[42:43], v[44:45]
	v_fma_f64 v[25:26], v[25:26], v[46:47], -v[56:57]
	v_fma_f64 v[27:28], v[27:28], v[46:47], v[48:49]
	;; [unrolled: 2-line block ×3, first 2 shown]
	v_add_f64 v[25:26], v[17:18], -v[25:26]
	v_add_f64 v[27:28], v[19:20], -v[27:28]
	v_add_f64 v[21:22], v[29:30], -v[21:22]
	v_add_f64 v[23:24], v[31:32], -v[23:24]
	v_fma_f64 v[42:43], v[17:18], 2.0, -v[25:26]
	v_fma_f64 v[44:45], v[19:20], 2.0, -v[27:28]
	;; [unrolled: 1-line block ×4, first 2 shown]
	v_add_f64 v[17:18], v[25:26], -v[23:24]
	v_add_f64 v[19:20], v[27:28], v[21:22]
	v_add_f64 v[21:22], v[42:43], -v[29:30]
	v_add_f64 v[23:24], v[44:45], -v[31:32]
	v_mov_b32_e32 v29, 0x60
	v_fma_f64 v[25:26], v[25:26], 2.0, -v[17:18]
	v_fma_f64 v[27:28], v[27:28], 2.0, -v[19:20]
	v_cndmask_b32_e64 v29, 0, v29, s[0:1]
	v_or_b32_e32 v39, v29, v60
	v_lshlrev_b32_e32 v39, 4, v39
	v_fma_f64 v[29:30], v[42:43], 2.0, -v[21:22]
	v_fma_f64 v[31:32], v[44:45], 2.0, -v[23:24]
	v_add3_u32 v39, 0, v39, v38
	ds_write_b128 v39, v[25:28] offset:384
	ds_write_b128 v39, v[21:24] offset:768
	ds_write_b128 v39, v[29:32]
	ds_write_b128 v39, v[17:20] offset:1152
	s_and_saveexec_b64 s[0:1], vcc
	s_cbranch_execz .LBB0_14
; %bb.13:
	v_lshrrev_b16_e32 v17, 10, v41
	v_mul_lo_u16_e32 v17, 24, v17
	v_sub_u16_e32 v41, v40, v17
	v_mov_b32_e32 v17, 3
	v_mul_u32_u24_sdwa v17, v41, v17 dst_sel:DWORD dst_unused:UNUSED_PAD src0_sel:BYTE_0 src1_sel:DWORD
	v_lshlrev_b32_e32 v29, 4, v17
	global_load_dwordx4 v[17:20], v29, s[20:21] offset:304
	global_load_dwordx4 v[21:24], v29, s[20:21] offset:288
	;; [unrolled: 1-line block ×3, first 2 shown]
	s_waitcnt vmcnt(2)
	v_mul_f64 v[29:30], v[9:10], v[19:20]
	s_waitcnt vmcnt(1)
	v_mul_f64 v[31:32], v[7:8], v[23:24]
	v_mul_f64 v[23:24], v[5:6], v[23:24]
	s_waitcnt vmcnt(0)
	v_mul_f64 v[39:40], v[13:14], v[27:28]
	v_mul_f64 v[19:20], v[11:12], v[19:20]
	;; [unrolled: 1-line block ×3, first 2 shown]
	v_fma_f64 v[11:12], v[11:12], v[17:18], v[29:30]
	v_fma_f64 v[5:6], v[5:6], v[21:22], -v[31:32]
	v_fma_f64 v[7:8], v[7:8], v[21:22], v[23:24]
	v_fma_f64 v[15:16], v[15:16], v[25:26], v[39:40]
	v_fma_f64 v[9:10], v[9:10], v[17:18], -v[19:20]
	v_fma_f64 v[13:14], v[13:14], v[25:26], -v[27:28]
	v_add_f64 v[11:12], v[3:4], -v[11:12]
	v_add_f64 v[15:16], v[7:8], -v[15:16]
	;; [unrolled: 1-line block ×4, first 2 shown]
	v_fma_f64 v[17:18], v[3:4], 2.0, -v[11:12]
	v_fma_f64 v[7:8], v[7:8], 2.0, -v[15:16]
	;; [unrolled: 1-line block ×4, first 2 shown]
	v_add_f64 v[3:4], v[11:12], v[13:14]
	v_add_f64 v[1:2], v[9:10], -v[15:16]
	v_add_f64 v[7:8], v[17:18], -v[7:8]
	;; [unrolled: 1-line block ×3, first 2 shown]
	v_fma_f64 v[11:12], v[11:12], 2.0, -v[3:4]
	v_fma_f64 v[9:10], v[9:10], 2.0, -v[1:2]
	;; [unrolled: 1-line block ×3, first 2 shown]
	v_mov_b32_e32 v17, 4
	v_fma_f64 v[13:14], v[19:20], 2.0, -v[5:6]
	v_lshlrev_b32_sdwa v17, v17, v41 dst_sel:DWORD dst_unused:UNUSED_PAD src0_sel:DWORD src1_sel:BYTE_0
	v_add3_u32 v17, 0, v17, v38
	ds_write_b128 v17, v[9:12] offset:1920
	ds_write_b128 v17, v[5:8] offset:2304
	;; [unrolled: 1-line block ×4, first 2 shown]
.LBB0_14:
	s_or_b64 exec, exec, s[0:1]
	s_waitcnt lgkmcnt(0)
	s_barrier
	global_load_dwordx4 v[1:4], v37, s[20:21] offset:1440
	global_load_dwordx4 v[5:8], v37, s[20:21] offset:1952
	;; [unrolled: 1-line block ×3, first 2 shown]
	ds_read_b128 v[14:17], v35
	ds_read_b128 v[18:21], v33 offset:512
	v_lshl_add_u32 v32, v34, 4, v36
	ds_read_b128 v[22:25], v33 offset:1536
	ds_read_b128 v[26:29], v33 offset:1024
	;; [unrolled: 1-line block ×4, first 2 shown]
	s_mul_i32 s0, s9, s17
	s_mul_hi_u32 s1, s8, s17
	s_mul_i32 s31, s31, s10
	s_mul_i32 s4, s8, s17
	s_add_i32 s1, s1, s0
	s_mul_i32 s5, s19, s30
	s_mul_hi_u32 s10, s18, s30
	s_add_u32 s0, s4, s31
	s_mul_i32 s11, s18, s30
	s_addc_u32 s1, s1, 0
	s_add_i32 s10, s10, s5
	s_add_u32 s4, s0, s11
	s_waitcnt vmcnt(0) lgkmcnt(0)
	s_barrier
	v_lshrrev_b32_e32 v9, 3, v0
	s_addc_u32 s5, s1, s10
	s_andn2_b64 vcc, exec, s[6:7]
	v_mul_f64 v[30:31], v[24:25], v[3:4]
	v_mul_f64 v[3:4], v[22:23], v[3:4]
	;; [unrolled: 1-line block ×6, first 2 shown]
	v_fma_f64 v[22:23], v[22:23], v[1:2], -v[30:31]
	v_fma_f64 v[3:4], v[24:25], v[1:2], v[3:4]
	v_fma_f64 v[24:25], v[34:35], v[5:6], -v[42:43]
	v_fma_f64 v[7:8], v[36:37], v[5:6], v[7:8]
	;; [unrolled: 2-line block ×3, first 2 shown]
	v_add_f64 v[1:2], v[14:15], -v[22:23]
	v_add_f64 v[3:4], v[16:17], -v[3:4]
	;; [unrolled: 1-line block ×6, first 2 shown]
	v_fma_f64 v[14:15], v[14:15], 2.0, -v[1:2]
	v_fma_f64 v[16:17], v[16:17], 2.0, -v[3:4]
	;; [unrolled: 1-line block ×6, first 2 shown]
	ds_write_b128 v33, v[1:4] offset:1536
	ds_write_b128 v32, v[5:8] offset:2048
	;; [unrolled: 1-line block ×3, first 2 shown]
	ds_write_b128 v33, v[14:17]
	ds_write_b128 v33, v[18:21] offset:512
	ds_write_b128 v33, v[22:25] offset:1024
	v_and_b32_e32 v10, 7, v0
	s_waitcnt lgkmcnt(0)
	s_barrier
	s_cbranch_vccnz .LBB0_18
; %bb.15:
	v_mad_u64_u32 v[2:3], s[0:1], s8, v10, 0
	v_mul_lo_u32 v7, v9, s12
	v_mov_b32_e32 v8, 0
	v_mov_b32_e32 v1, v3
	v_mad_u64_u32 v[3:4], s[0:1], s9, v10, v[1:2]
	s_movk_i32 s0, 0xc10
	v_mad_u32_u24 v1, v10, s0, 0
	s_lshl_b64 s[0:1], s[4:5], 4
	s_add_u32 s0, s2, s0
	v_lshlrev_b64 v[2:3], 4, v[2:3]
	v_lshl_add_u32 v4, v9, 4, v1
	s_addc_u32 s1, s3, s1
	ds_read_b128 v[11:14], v4
	ds_read_b128 v[15:18], v4 offset:512
	v_mov_b32_e32 v6, s1
	v_add_co_u32_e32 v5, vcc, s0, v2
	v_addc_co_u32_e32 v6, vcc, v6, v3, vcc
	v_lshlrev_b64 v[2:3], 4, v[7:8]
	s_lshl_b32 s0, s12, 5
	v_add_co_u32_e32 v2, vcc, v5, v2
	v_addc_co_u32_e32 v3, vcc, v6, v3, vcc
	v_add_u32_e32 v7, s0, v7
	s_waitcnt lgkmcnt(1)
	global_store_dwordx4 v[2:3], v[11:14], off
	v_lshlrev_b64 v[2:3], 4, v[7:8]
	v_add_u32_e32 v7, s0, v7
	v_add_co_u32_e32 v2, vcc, v5, v2
	v_addc_co_u32_e32 v3, vcc, v6, v3, vcc
	ds_read_b128 v[11:14], v4 offset:1024
	s_waitcnt lgkmcnt(1)
	global_store_dwordx4 v[2:3], v[15:18], off
	ds_read_b128 v[15:18], v4 offset:1536
	v_lshlrev_b64 v[2:3], 4, v[7:8]
	v_add_u32_e32 v7, s0, v7
	v_add_co_u32_e32 v2, vcc, v5, v2
	v_addc_co_u32_e32 v3, vcc, v6, v3, vcc
	s_waitcnt lgkmcnt(1)
	global_store_dwordx4 v[2:3], v[11:14], off
	v_lshlrev_b64 v[2:3], 4, v[7:8]
	v_add_u32_e32 v7, s0, v7
	v_add_co_u32_e32 v2, vcc, v5, v2
	v_addc_co_u32_e32 v3, vcc, v6, v3, vcc
	ds_read_b128 v[11:14], v4 offset:2048
	s_waitcnt lgkmcnt(1)
	global_store_dwordx4 v[2:3], v[15:18], off
	ds_read_b128 v[15:18], v4 offset:2560
	v_lshlrev_b64 v[2:3], 4, v[7:8]
	v_add_u32_e32 v7, s0, v7
	v_add_co_u32_e32 v2, vcc, v5, v2
	v_addc_co_u32_e32 v3, vcc, v6, v3, vcc
	s_waitcnt lgkmcnt(1)
	global_store_dwordx4 v[2:3], v[11:14], off
	v_lshlrev_b64 v[2:3], 4, v[7:8]
	s_mov_b32 s7, 0
	v_add_co_u32_e32 v2, vcc, v5, v2
	v_addc_co_u32_e32 v3, vcc, v6, v3, vcc
	v_cmp_gt_u32_e32 vcc, 8, v0
	s_mov_b64 s[10:11], 0
	s_mov_b64 s[0:1], 0
	s_waitcnt lgkmcnt(0)
	global_store_dwordx4 v[2:3], v[15:18], off
                                        ; implicit-def: $vgpr3_vgpr4
                                        ; implicit-def: $vgpr7_vgpr8
	s_and_saveexec_b64 s[14:15], vcc
	s_cbranch_execz .LBB0_17
; %bb.16:
	ds_read_b128 v[1:4], v1 offset:3072
	s_mul_i32 s6, s12, 0xc0
	s_lshl_b64 s[6:7], s[6:7], 4
	v_mov_b32_e32 v8, s7
	v_add_co_u32_e32 v7, vcc, s6, v5
	s_mov_b64 s[0:1], exec
	v_addc_co_u32_e32 v8, vcc, v6, v8, vcc
	s_waitcnt lgkmcnt(0)
	global_store_dwordx2 v[7:8], v[1:2], off
.LBB0_17:
	s_or_b64 exec, exec, s[14:15]
	s_and_b64 vcc, exec, s[10:11]
	s_cbranch_vccnz .LBB0_19
	s_branch .LBB0_24
.LBB0_18:
	s_mov_b64 s[0:1], 0
                                        ; implicit-def: $vgpr3_vgpr4
                                        ; implicit-def: $vgpr7_vgpr8
	s_cbranch_execz .LBB0_24
.LBB0_19:
	v_or_b32_e32 v1, s17, v10
	v_cmp_gt_u32_e32 vcc, s16, v1
                                        ; implicit-def: $vgpr3_vgpr4
                                        ; implicit-def: $vgpr7_vgpr8
	s_and_saveexec_b64 s[6:7], vcc
	s_cbranch_execz .LBB0_23
; %bb.20:
	v_mad_u64_u32 v[2:3], s[10:11], s8, v10, 0
	v_mul_lo_u32 v5, v9, s12
	s_lshl_b64 s[4:5], s[4:5], 4
	v_mov_b32_e32 v1, v3
	v_mad_u64_u32 v[3:4], s[8:9], s9, v10, v[1:2]
	s_movk_i32 s8, 0xc10
	v_mad_u32_u24 v1, v10, s8, 0
	s_add_u32 s2, s2, s4
	v_lshlrev_b64 v[2:3], 4, v[2:3]
	v_lshl_add_u32 v4, v9, 4, v1
	s_addc_u32 s3, s3, s5
	v_mov_b32_e32 v6, 0
	ds_read_b128 v[11:14], v4
	ds_read_b128 v[15:18], v4 offset:512
	v_mov_b32_e32 v7, s3
	v_add_co_u32_e32 v9, vcc, s2, v2
	v_addc_co_u32_e32 v10, vcc, v7, v3, vcc
	v_lshlrev_b64 v[2:3], 4, v[5:6]
	s_lshl_b32 s8, s12, 5
	v_add_co_u32_e32 v2, vcc, v9, v2
	v_addc_co_u32_e32 v3, vcc, v10, v3, vcc
	v_add_u32_e32 v5, s8, v5
	s_waitcnt lgkmcnt(1)
	global_store_dwordx4 v[2:3], v[11:14], off
	v_lshlrev_b64 v[2:3], 4, v[5:6]
	v_add_u32_e32 v5, s8, v5
	v_add_co_u32_e32 v2, vcc, v9, v2
	v_addc_co_u32_e32 v3, vcc, v10, v3, vcc
	ds_read_b128 v[11:14], v4 offset:1024
	s_waitcnt lgkmcnt(1)
	global_store_dwordx4 v[2:3], v[15:18], off
	ds_read_b128 v[15:18], v4 offset:1536
	v_lshlrev_b64 v[2:3], 4, v[5:6]
	v_add_u32_e32 v5, s8, v5
	v_add_co_u32_e32 v2, vcc, v9, v2
	v_addc_co_u32_e32 v3, vcc, v10, v3, vcc
	s_waitcnt lgkmcnt(1)
	global_store_dwordx4 v[2:3], v[11:14], off
	v_lshlrev_b64 v[2:3], 4, v[5:6]
	v_add_u32_e32 v5, s8, v5
	v_add_co_u32_e32 v2, vcc, v9, v2
	v_addc_co_u32_e32 v3, vcc, v10, v3, vcc
	ds_read_b128 v[11:14], v4 offset:2048
	s_waitcnt lgkmcnt(1)
	global_store_dwordx4 v[2:3], v[15:18], off
	ds_read_b128 v[15:18], v4 offset:2560
	v_lshlrev_b64 v[2:3], 4, v[5:6]
	v_add_u32_e32 v5, s8, v5
	v_add_co_u32_e32 v2, vcc, v9, v2
	v_addc_co_u32_e32 v3, vcc, v10, v3, vcc
	s_waitcnt lgkmcnt(1)
	global_store_dwordx4 v[2:3], v[11:14], off
	v_lshlrev_b64 v[2:3], 4, v[5:6]
	s_and_b32 s2, s16, 7
	v_add_co_u32_e32 v2, vcc, v9, v2
	v_addc_co_u32_e32 v3, vcc, v10, v3, vcc
	v_cmp_gt_u32_e32 vcc, s2, v0
	s_mov_b64 s[4:5], s[0:1]
	s_waitcnt lgkmcnt(0)
	global_store_dwordx4 v[2:3], v[15:18], off
                                        ; implicit-def: $vgpr3_vgpr4
                                        ; implicit-def: $vgpr7_vgpr8
	s_and_saveexec_b64 s[2:3], vcc
	s_cbranch_execz .LBB0_22
; %bb.21:
	v_add_u32_e32 v5, s8, v5
	ds_read_b128 v[1:4], v1 offset:3072
	v_lshlrev_b64 v[5:6], 4, v[5:6]
	s_or_b64 s[4:5], s[0:1], exec
	v_add_co_u32_e32 v7, vcc, v9, v5
	v_addc_co_u32_e32 v8, vcc, v10, v6, vcc
	s_waitcnt lgkmcnt(0)
	global_store_dwordx2 v[7:8], v[1:2], off
.LBB0_22:
	s_or_b64 exec, exec, s[2:3]
	s_andn2_b64 s[0:1], s[0:1], exec
	s_and_b64 s[2:3], s[4:5], exec
	s_or_b64 s[0:1], s[0:1], s[2:3]
.LBB0_23:
	s_or_b64 exec, exec, s[6:7]
.LBB0_24:
	s_and_saveexec_b64 s[2:3], s[0:1]
	s_cbranch_execnz .LBB0_26
; %bb.25:
	s_endpgm
.LBB0_26:
	global_store_dwordx2 v[7:8], v[3:4], off offset:8
	s_endpgm
	.section	.rodata,"a",@progbits
	.p2align	6, 0x0
	.amdhsa_kernel fft_rtc_fwd_len192_factors_6_4_4_2_wgs_256_tpt_32_dp_op_CI_CI_sbrc_erc_z_xy_unaligned_dirReg
		.amdhsa_group_segment_fixed_size 0
		.amdhsa_private_segment_fixed_size 0
		.amdhsa_kernarg_size 104
		.amdhsa_user_sgpr_count 6
		.amdhsa_user_sgpr_private_segment_buffer 1
		.amdhsa_user_sgpr_dispatch_ptr 0
		.amdhsa_user_sgpr_queue_ptr 0
		.amdhsa_user_sgpr_kernarg_segment_ptr 1
		.amdhsa_user_sgpr_dispatch_id 0
		.amdhsa_user_sgpr_flat_scratch_init 0
		.amdhsa_user_sgpr_private_segment_size 0
		.amdhsa_uses_dynamic_stack 0
		.amdhsa_system_sgpr_private_segment_wavefront_offset 0
		.amdhsa_system_sgpr_workgroup_id_x 1
		.amdhsa_system_sgpr_workgroup_id_y 0
		.amdhsa_system_sgpr_workgroup_id_z 0
		.amdhsa_system_sgpr_workgroup_info 0
		.amdhsa_system_vgpr_workitem_id 0
		.amdhsa_next_free_vgpr 61
		.amdhsa_next_free_sgpr 32
		.amdhsa_reserve_vcc 1
		.amdhsa_reserve_flat_scratch 0
		.amdhsa_float_round_mode_32 0
		.amdhsa_float_round_mode_16_64 0
		.amdhsa_float_denorm_mode_32 3
		.amdhsa_float_denorm_mode_16_64 3
		.amdhsa_dx10_clamp 1
		.amdhsa_ieee_mode 1
		.amdhsa_fp16_overflow 0
		.amdhsa_exception_fp_ieee_invalid_op 0
		.amdhsa_exception_fp_denorm_src 0
		.amdhsa_exception_fp_ieee_div_zero 0
		.amdhsa_exception_fp_ieee_overflow 0
		.amdhsa_exception_fp_ieee_underflow 0
		.amdhsa_exception_fp_ieee_inexact 0
		.amdhsa_exception_int_div_zero 0
	.end_amdhsa_kernel
	.text
.Lfunc_end0:
	.size	fft_rtc_fwd_len192_factors_6_4_4_2_wgs_256_tpt_32_dp_op_CI_CI_sbrc_erc_z_xy_unaligned_dirReg, .Lfunc_end0-fft_rtc_fwd_len192_factors_6_4_4_2_wgs_256_tpt_32_dp_op_CI_CI_sbrc_erc_z_xy_unaligned_dirReg
                                        ; -- End function
	.section	.AMDGPU.csdata,"",@progbits
; Kernel info:
; codeLenInByte = 4952
; NumSgprs: 36
; NumVgprs: 61
; ScratchSize: 0
; MemoryBound: 0
; FloatMode: 240
; IeeeMode: 1
; LDSByteSize: 0 bytes/workgroup (compile time only)
; SGPRBlocks: 4
; VGPRBlocks: 15
; NumSGPRsForWavesPerEU: 36
; NumVGPRsForWavesPerEU: 61
; Occupancy: 4
; WaveLimiterHint : 1
; COMPUTE_PGM_RSRC2:SCRATCH_EN: 0
; COMPUTE_PGM_RSRC2:USER_SGPR: 6
; COMPUTE_PGM_RSRC2:TRAP_HANDLER: 0
; COMPUTE_PGM_RSRC2:TGID_X_EN: 1
; COMPUTE_PGM_RSRC2:TGID_Y_EN: 0
; COMPUTE_PGM_RSRC2:TGID_Z_EN: 0
; COMPUTE_PGM_RSRC2:TIDIG_COMP_CNT: 0
	.type	__hip_cuid_6183433b6b334ed,@object ; @__hip_cuid_6183433b6b334ed
	.section	.bss,"aw",@nobits
	.globl	__hip_cuid_6183433b6b334ed
__hip_cuid_6183433b6b334ed:
	.byte	0                               ; 0x0
	.size	__hip_cuid_6183433b6b334ed, 1

	.ident	"AMD clang version 19.0.0git (https://github.com/RadeonOpenCompute/llvm-project roc-6.4.0 25133 c7fe45cf4b819c5991fe208aaa96edf142730f1d)"
	.section	".note.GNU-stack","",@progbits
	.addrsig
	.addrsig_sym __hip_cuid_6183433b6b334ed
	.amdgpu_metadata
---
amdhsa.kernels:
  - .args:
      - .actual_access:  read_only
        .address_space:  global
        .offset:         0
        .size:           8
        .value_kind:     global_buffer
      - .offset:         8
        .size:           8
        .value_kind:     by_value
      - .actual_access:  read_only
        .address_space:  global
        .offset:         16
        .size:           8
        .value_kind:     global_buffer
      - .actual_access:  read_only
        .address_space:  global
        .offset:         24
        .size:           8
        .value_kind:     global_buffer
      - .actual_access:  read_only
        .address_space:  global
        .offset:         32
        .size:           8
        .value_kind:     global_buffer
      - .offset:         40
        .size:           8
        .value_kind:     by_value
      - .actual_access:  read_only
        .address_space:  global
        .offset:         48
        .size:           8
        .value_kind:     global_buffer
      - .actual_access:  read_only
        .address_space:  global
        .offset:         56
        .size:           8
        .value_kind:     global_buffer
      - .offset:         64
        .size:           4
        .value_kind:     by_value
      - .actual_access:  read_only
        .address_space:  global
        .offset:         72
        .size:           8
        .value_kind:     global_buffer
      - .actual_access:  read_only
        .address_space:  global
        .offset:         80
        .size:           8
        .value_kind:     global_buffer
      - .actual_access:  read_only
        .address_space:  global
        .offset:         88
        .size:           8
        .value_kind:     global_buffer
      - .actual_access:  write_only
        .address_space:  global
        .offset:         96
        .size:           8
        .value_kind:     global_buffer
    .group_segment_fixed_size: 0
    .kernarg_segment_align: 8
    .kernarg_segment_size: 104
    .language:       OpenCL C
    .language_version:
      - 2
      - 0
    .max_flat_workgroup_size: 256
    .name:           fft_rtc_fwd_len192_factors_6_4_4_2_wgs_256_tpt_32_dp_op_CI_CI_sbrc_erc_z_xy_unaligned_dirReg
    .private_segment_fixed_size: 0
    .sgpr_count:     36
    .sgpr_spill_count: 0
    .symbol:         fft_rtc_fwd_len192_factors_6_4_4_2_wgs_256_tpt_32_dp_op_CI_CI_sbrc_erc_z_xy_unaligned_dirReg.kd
    .uniform_work_group_size: 1
    .uses_dynamic_stack: false
    .vgpr_count:     61
    .vgpr_spill_count: 0
    .wavefront_size: 64
amdhsa.target:   amdgcn-amd-amdhsa--gfx906
amdhsa.version:
  - 1
  - 2
...

	.end_amdgpu_metadata
